;; amdgpu-corpus repo=ROCm/rocFFT kind=compiled arch=gfx906 opt=O3
	.text
	.amdgcn_target "amdgcn-amd-amdhsa--gfx906"
	.amdhsa_code_object_version 6
	.protected	bluestein_single_fwd_len28_dim1_sp_op_CI_CI ; -- Begin function bluestein_single_fwd_len28_dim1_sp_op_CI_CI
	.globl	bluestein_single_fwd_len28_dim1_sp_op_CI_CI
	.p2align	8
	.type	bluestein_single_fwd_len28_dim1_sp_op_CI_CI,@function
bluestein_single_fwd_len28_dim1_sp_op_CI_CI: ; @bluestein_single_fwd_len28_dim1_sp_op_CI_CI
; %bb.0:
	s_load_dwordx4 s[8:11], s[4:5], 0x28
	v_lshrrev_b32_e32 v1, 2, v0
	v_lshl_or_b32 v20, s6, 4, v1
	v_mov_b32_e32 v21, 0
	s_waitcnt lgkmcnt(0)
	v_cmp_gt_u64_e32 vcc, s[8:9], v[20:21]
	s_and_saveexec_b64 s[0:1], vcc
	s_cbranch_execz .LBB0_10
; %bb.1:
	s_load_dwordx4 s[0:3], s[4:5], 0x18
	s_load_dwordx4 s[12:15], s[4:5], 0x0
	v_and_b32_e32 v45, 3, v0
	v_lshlrev_b32_e32 v49, 3, v45
	v_mul_u32_u24_e32 v50, 28, v1
	s_waitcnt lgkmcnt(0)
	s_load_dwordx4 s[16:19], s[0:1], 0x0
	v_lshl_or_b32 v46, v50, 3, v49
	s_waitcnt lgkmcnt(0)
	v_mad_u64_u32 v[2:3], s[0:1], s18, v20, 0
	v_mad_u64_u32 v[4:5], s[0:1], s16, v45, 0
	v_mov_b32_e32 v0, v3
	v_mov_b32_e32 v3, v5
	v_mad_u64_u32 v[5:6], s[0:1], s19, v20, v[0:1]
	v_mad_u64_u32 v[6:7], s[0:1], s17, v45, v[3:4]
	v_mov_b32_e32 v3, v5
	v_lshlrev_b64 v[2:3], 3, v[2:3]
	v_mov_b32_e32 v5, v6
	v_mov_b32_e32 v0, s11
	v_lshlrev_b64 v[4:5], 3, v[4:5]
	v_add_co_u32_e32 v2, vcc, s10, v2
	v_addc_co_u32_e32 v0, vcc, v0, v3, vcc
	v_add_co_u32_e32 v2, vcc, v2, v4
	v_addc_co_u32_e32 v3, vcc, v0, v5, vcc
	s_lshl_b64 s[0:1], s[16:17], 5
	global_load_dwordx2 v[4:5], v[2:3], off
	v_mov_b32_e32 v0, s1
	v_add_co_u32_e32 v2, vcc, s0, v2
	v_addc_co_u32_e32 v3, vcc, v3, v0, vcc
	v_add_co_u32_e32 v6, vcc, s0, v2
	v_addc_co_u32_e32 v7, vcc, v3, v0, vcc
	global_load_dwordx2 v[33:34], v49, s[12:13]
	global_load_dwordx2 v[21:22], v49, s[12:13] offset:32
	global_load_dwordx2 v[8:9], v[2:3], off
	global_load_dwordx2 v[10:11], v[6:7], off
	v_add_co_u32_e32 v2, vcc, s0, v6
	v_addc_co_u32_e32 v3, vcc, v7, v0, vcc
	v_add_co_u32_e32 v6, vcc, s0, v2
	v_addc_co_u32_e32 v7, vcc, v3, v0, vcc
	global_load_dwordx2 v[31:32], v49, s[12:13] offset:64
	global_load_dwordx2 v[23:24], v49, s[12:13] offset:96
	global_load_dwordx2 v[12:13], v[2:3], off
	global_load_dwordx2 v[14:15], v[6:7], off
	global_load_dwordx2 v[29:30], v49, s[12:13] offset:128
	v_add_co_u32_e32 v2, vcc, s0, v6
	v_addc_co_u32_e32 v3, vcc, v7, v0, vcc
	global_load_dwordx2 v[6:7], v[2:3], off
	global_load_dwordx2 v[25:26], v49, s[12:13] offset:160
	v_add_co_u32_e32 v2, vcc, s0, v2
	v_addc_co_u32_e32 v3, vcc, v3, v0, vcc
	global_load_dwordx2 v[27:28], v49, s[12:13] offset:192
	global_load_dwordx2 v[16:17], v[2:3], off
	v_or_b32_e32 v0, v50, v45
	v_lshlrev_b32_e32 v47, 3, v0
	s_load_dwordx4 s[8:11], s[2:3], 0x0
	s_mov_b32 s1, 0x3f3bfb3b
	s_mov_b32 s0, 0x3f5ff5aa
	s_load_dwordx2 s[2:3], s[4:5], 0x38
	s_waitcnt vmcnt(12)
	v_mul_f32_e32 v0, v5, v34
	v_mul_f32_e32 v1, v4, v34
	v_fmac_f32_e32 v0, v4, v33
	v_fma_f32 v1, v5, v33, -v1
	s_waitcnt vmcnt(10)
	v_mul_f32_e32 v2, v9, v22
	v_mul_f32_e32 v3, v8, v22
	ds_write_b64 v47, v[0:1]
	v_fmac_f32_e32 v2, v8, v21
	v_fma_f32 v3, v9, v21, -v3
	s_waitcnt vmcnt(8)
	v_mul_f32_e32 v0, v11, v32
	v_mul_f32_e32 v1, v10, v32
	v_fmac_f32_e32 v0, v10, v31
	v_fma_f32 v1, v11, v31, -v1
	s_waitcnt vmcnt(6)
	v_mul_f32_e32 v4, v13, v24
	v_mul_f32_e32 v5, v12, v24
	ds_write2_b64 v46, v[2:3], v[0:1] offset0:4 offset1:8
	s_waitcnt vmcnt(4)
	v_mul_f32_e32 v0, v15, v30
	v_mul_f32_e32 v1, v14, v30
	v_fmac_f32_e32 v4, v12, v23
	v_fma_f32 v5, v13, v23, -v5
	v_fmac_f32_e32 v0, v14, v29
	v_fma_f32 v1, v15, v29, -v1
	s_waitcnt vmcnt(2)
	v_mul_f32_e32 v2, v7, v26
	v_mul_f32_e32 v3, v6, v26
	ds_write2_b64 v46, v[4:5], v[0:1] offset0:12 offset1:16
	s_waitcnt vmcnt(0)
	v_mul_f32_e32 v0, v17, v28
	v_mul_f32_e32 v1, v16, v28
	v_fmac_f32_e32 v2, v6, v25
	v_fma_f32 v3, v7, v25, -v3
	v_fmac_f32_e32 v0, v16, v27
	v_fma_f32 v1, v17, v27, -v1
	ds_write2_b64 v46, v[2:3], v[0:1] offset0:20 offset1:24
	s_waitcnt lgkmcnt(0)
	; wave barrier
	s_waitcnt lgkmcnt(0)
	ds_read2_b64 v[0:3], v46 offset0:4 offset1:8
	ds_read2_b64 v[4:7], v46 offset0:20 offset1:24
	ds_read_b64 v[12:13], v47
	ds_read2_b64 v[8:11], v46 offset0:12 offset1:16
	s_waitcnt lgkmcnt(0)
	; wave barrier
	s_waitcnt lgkmcnt(0)
	v_mov_b32_e32 v14, s13
	v_add_f32_e32 v15, v0, v6
	v_sub_f32_e32 v0, v0, v6
	v_add_f32_e32 v6, v2, v4
	v_add_f32_e32 v16, v1, v7
	v_sub_f32_e32 v1, v1, v7
	v_add_f32_e32 v7, v3, v5
	v_sub_f32_e32 v2, v2, v4
	;; [unrolled: 2-line block ×6, first 2 shown]
	v_sub_f32_e32 v15, v15, v4
	v_sub_f32_e32 v6, v4, v6
	v_add_f32_e32 v19, v8, v2
	v_add_f32_e32 v4, v4, v10
	v_sub_f32_e32 v18, v7, v16
	v_sub_f32_e32 v16, v16, v5
	;; [unrolled: 1-line block ×3, first 2 shown]
	v_add_f32_e32 v35, v9, v3
	v_sub_f32_e32 v36, v8, v2
	v_sub_f32_e32 v37, v9, v3
	;; [unrolled: 1-line block ×4, first 2 shown]
	v_add_f32_e32 v5, v5, v11
	v_add_f32_e32 v10, v19, v0
	;; [unrolled: 1-line block ×3, first 2 shown]
	v_sub_f32_e32 v9, v1, v9
	v_sub_f32_e32 v3, v3, v1
	v_add_f32_e32 v11, v35, v1
	v_add_f32_e32 v1, v13, v5
	v_mul_f32_e32 v12, 0x3f4a47b2, v15
	v_mul_f32_e32 v13, 0x3f4a47b2, v16
	;; [unrolled: 1-line block ×5, first 2 shown]
	v_mov_b32_e32 v37, v0
	v_mul_f32_e32 v19, 0xbf08b237, v36
	v_fmac_f32_e32 v37, 0xbf955555, v4
	v_mov_b32_e32 v4, v1
	v_fma_f32 v15, v17, s1, -v15
	v_fma_f32 v16, v18, s1, -v16
	s_mov_b32 s1, 0xbf3bfb3b
	v_fmac_f32_e32 v4, 0xbf955555, v5
	v_mul_f32_e32 v5, 0x3f5ff5aa, v3
	v_fma_f32 v17, v17, s1, -v12
	v_fmac_f32_e32 v12, 0x3d64c772, v6
	v_fma_f32 v6, v18, s1, -v13
	v_fma_f32 v18, v2, s0, -v19
	;; [unrolled: 1-line block ×3, first 2 shown]
	s_mov_b32 s0, 0xbeae86e6
	v_mul_f32_e32 v36, 0x3f5ff5aa, v2
	v_fma_f32 v39, v9, s0, -v5
	v_fmac_f32_e32 v13, 0x3d64c772, v7
	v_fmac_f32_e32 v19, 0x3eae86e6, v8
	;; [unrolled: 1-line block ×3, first 2 shown]
	v_fma_f32 v36, v8, s0, -v36
	v_add_f32_e32 v8, v15, v37
	v_add_f32_e32 v15, v17, v37
	v_fmac_f32_e32 v39, 0x3ee1c552, v11
	v_add_f32_e32 v12, v12, v37
	v_add_f32_e32 v13, v13, v4
	;; [unrolled: 1-line block ×4, first 2 shown]
	v_fmac_f32_e32 v19, 0x3ee1c552, v10
	v_fmac_f32_e32 v35, 0x3ee1c552, v11
	;; [unrolled: 1-line block ×4, first 2 shown]
	v_add_f32_e32 v4, v39, v15
	v_sub_f32_e32 v10, v15, v39
	v_mul_u32_u24_e32 v15, 7, v45
	v_fmac_f32_e32 v38, 0x3ee1c552, v11
	v_add_f32_e32 v2, v12, v35
	v_sub_f32_e32 v3, v13, v19
	v_add_lshl_u32 v48, v50, v15, 3
	v_sub_f32_e32 v5, v16, v36
	v_sub_f32_e32 v6, v8, v38
	v_add_f32_e32 v7, v18, v9
	v_add_f32_e32 v8, v38, v8
	v_sub_f32_e32 v9, v9, v18
	v_add_f32_e32 v11, v36, v16
	v_sub_f32_e32 v12, v12, v35
	v_add_f32_e32 v13, v19, v13
	ds_write2_b64 v48, v[0:1], v[2:3] offset1:1
	ds_write2_b64 v48, v[4:5], v[6:7] offset0:2 offset1:3
	ds_write2_b64 v48, v[8:9], v[10:11] offset0:4 offset1:5
	ds_write_b64 v48, v[12:13] offset:48
	s_waitcnt lgkmcnt(0)
	; wave barrier
	s_waitcnt lgkmcnt(0)
	ds_read2_b64 v[16:19], v46 offset0:7 offset1:14
	ds_read_b64 v[41:42], v47
	ds_read_b64 v[43:44], v46 offset:168
	v_add_co_u32_e32 v39, vcc, s12, v49
	v_addc_co_u32_e32 v40, vcc, 0, v14, vcc
	v_cmp_eq_u32_e64 s[0:1], 3, v45
	v_cmp_ne_u32_e32 vcc, 3, v45
	s_and_saveexec_b64 s[4:5], vcc
	s_cbranch_execz .LBB0_3
; %bb.2:
	ds_read2_b64 v[8:11], v46 offset0:4 offset1:11
	ds_read2_b64 v[12:15], v46 offset0:18 offset1:25
.LBB0_3:
	s_or_b64 exec, exec, s[4:5]
	v_mad_u64_u32 v[0:1], s[4:5], v45, 24, s[14:15]
	v_mov_b32_e32 v2, s15
	global_load_dwordx4 v[4:7], v[0:1], off
	global_load_dwordx2 v[37:38], v[0:1], off offset:16
	v_or_b32_e32 v0, 4, v45
	v_mul_hi_u32_u24_e32 v1, 3, v0
	v_mul_u32_u24_e32 v0, 3, v0
	v_cndmask_b32_e64 v1, v1, 0, s[0:1]
	v_cndmask_b32_e64 v0, v0, 0, s[0:1]
	v_lshlrev_b64 v[0:1], 3, v[0:1]
	v_add_co_u32_e64 v51, s[0:1], s14, v0
	v_addc_co_u32_e64 v52, s[0:1], v2, v1, s[0:1]
	global_load_dwordx4 v[0:3], v[51:52], off
	global_load_dwordx2 v[35:36], v[51:52], off offset:16
	s_waitcnt vmcnt(3) lgkmcnt(2)
	v_mul_f32_e32 v51, v17, v5
	v_mul_f32_e32 v52, v16, v5
	;; [unrolled: 1-line block ×4, first 2 shown]
	s_waitcnt vmcnt(2) lgkmcnt(0)
	v_mul_f32_e32 v55, v44, v38
	v_mul_f32_e32 v56, v43, v38
	v_fma_f32 v16, v16, v4, -v51
	v_fmac_f32_e32 v52, v17, v4
	v_fma_f32 v17, v18, v6, -v53
	v_fmac_f32_e32 v54, v19, v6
	;; [unrolled: 2-line block ×3, first 2 shown]
	v_sub_f32_e32 v17, v41, v17
	v_sub_f32_e32 v19, v42, v54
	;; [unrolled: 1-line block ×4, first 2 shown]
	s_waitcnt vmcnt(1)
	v_mul_f32_e32 v51, v11, v1
	v_mul_f32_e32 v18, v10, v1
	v_mul_f32_e32 v53, v13, v3
	v_mul_f32_e32 v54, v12, v3
	s_waitcnt vmcnt(0)
	v_mul_f32_e32 v55, v15, v36
	v_mul_f32_e32 v56, v14, v36
	v_fma_f32 v57, v41, 2.0, -v17
	v_fma_f32 v58, v42, 2.0, -v19
	;; [unrolled: 1-line block ×4, first 2 shown]
	v_fma_f32 v10, v10, v0, -v51
	v_fmac_f32_e32 v18, v11, v0
	v_fma_f32 v11, v12, v2, -v53
	v_fmac_f32_e32 v54, v13, v2
	;; [unrolled: 2-line block ×3, first 2 shown]
	v_sub_f32_e32 v41, v17, v44
	v_add_f32_e32 v42, v19, v43
	v_sub_f32_e32 v43, v57, v16
	v_sub_f32_e32 v44, v58, v52
	;; [unrolled: 1-line block ×6, first 2 shown]
	v_fma_f32 v51, v17, 2.0, -v41
	v_fma_f32 v53, v57, 2.0, -v43
	;; [unrolled: 1-line block ×3, first 2 shown]
	v_sub_f32_e32 v16, v11, v14
	v_add_f32_e32 v17, v13, v12
	v_fma_f32 v52, v19, 2.0, -v42
	ds_write_b64 v47, v[53:54]
	ds_write2_b64 v46, v[51:52], v[43:44] offset0:7 offset1:14
	ds_write_b64 v46, v[41:42] offset:168
	s_and_saveexec_b64 s[0:1], vcc
	s_cbranch_execz .LBB0_5
; %bb.4:
	v_fma_f32 v42, v13, 2.0, -v17
	v_fma_f32 v41, v11, 2.0, -v16
	;; [unrolled: 1-line block ×6, first 2 shown]
	v_sub_f32_e32 v9, v13, v9
	v_sub_f32_e32 v8, v11, v8
	v_fma_f32 v13, v13, 2.0, -v9
	v_fma_f32 v12, v11, 2.0, -v8
	ds_write2_b64 v46, v[12:13], v[41:42] offset0:4 offset1:11
	ds_write2_b64 v46, v[8:9], v[16:17] offset0:18 offset1:25
.LBB0_5:
	s_or_b64 exec, exec, s[0:1]
	s_waitcnt lgkmcnt(0)
	; wave barrier
	s_waitcnt lgkmcnt(0)
	global_load_dwordx2 v[10:11], v[39:40], off offset:224
	ds_read_b64 v[8:9], v47
	s_add_u32 s0, s12, 0xe0
	s_addc_u32 s1, s13, 0
	v_lshl_add_u32 v43, v50, 3, v49
	s_waitcnt vmcnt(0) lgkmcnt(0)
	v_mul_f32_e32 v12, v9, v11
	v_mul_f32_e32 v13, v8, v11
	v_fma_f32 v12, v8, v10, -v12
	v_fmac_f32_e32 v13, v9, v10
	global_load_dwordx2 v[10:11], v49, s[0:1] offset:32
	ds_write_b64 v47, v[12:13]
	ds_read_b64 v[8:9], v43 offset:32
	s_waitcnt vmcnt(0) lgkmcnt(0)
	v_mul_f32_e32 v12, v9, v11
	v_mul_f32_e32 v13, v8, v11
	v_fma_f32 v12, v8, v10, -v12
	v_fmac_f32_e32 v13, v9, v10
	ds_write_b64 v43, v[12:13] offset:32
	global_load_dwordx2 v[12:13], v49, s[0:1] offset:64
	ds_read2_b64 v[8:11], v46 offset0:8 offset1:12
	s_waitcnt vmcnt(0) lgkmcnt(0)
	v_mul_f32_e32 v14, v9, v13
	v_mul_f32_e32 v15, v8, v13
	v_fma_f32 v14, v8, v12, -v14
	v_fmac_f32_e32 v15, v9, v12
	global_load_dwordx2 v[8:9], v49, s[0:1] offset:96
	s_waitcnt vmcnt(0)
	v_mul_f32_e32 v12, v11, v9
	v_mul_f32_e32 v13, v10, v9
	v_fma_f32 v12, v10, v8, -v12
	v_fmac_f32_e32 v13, v11, v8
	ds_write2_b64 v46, v[14:15], v[12:13] offset0:8 offset1:12
	global_load_dwordx2 v[12:13], v49, s[0:1] offset:128
	ds_read2_b64 v[8:11], v46 offset0:16 offset1:20
	s_waitcnt vmcnt(0) lgkmcnt(0)
	v_mul_f32_e32 v14, v9, v13
	v_mul_f32_e32 v15, v8, v13
	v_fma_f32 v14, v8, v12, -v14
	v_fmac_f32_e32 v15, v9, v12
	global_load_dwordx2 v[8:9], v49, s[0:1] offset:160
	s_waitcnt vmcnt(0)
	v_mul_f32_e32 v12, v11, v9
	v_mul_f32_e32 v13, v10, v9
	v_fma_f32 v12, v10, v8, -v12
	v_fmac_f32_e32 v13, v11, v8
	global_load_dwordx2 v[10:11], v49, s[0:1] offset:192
	ds_read_b64 v[8:9], v46 offset:192
	ds_write2_b64 v46, v[14:15], v[12:13] offset0:16 offset1:20
	s_mov_b32 s0, 0xbf5ff5aa
	s_mov_b32 s1, 0x3f3bfb3b
	s_waitcnt vmcnt(0) lgkmcnt(1)
	v_mul_f32_e32 v12, v9, v11
	v_mul_f32_e32 v13, v8, v11
	v_fma_f32 v12, v8, v10, -v12
	v_fmac_f32_e32 v13, v9, v10
	ds_write_b64 v46, v[12:13] offset:192
	s_waitcnt lgkmcnt(0)
	; wave barrier
	s_waitcnt lgkmcnt(0)
	ds_read_b64 v[18:19], v47
	ds_read_b64 v[39:40], v43 offset:32
	ds_read2_b64 v[8:11], v46 offset0:8 offset1:12
	ds_read2_b64 v[12:15], v46 offset0:16 offset1:20
	ds_read_b64 v[41:42], v46 offset:192
	s_waitcnt lgkmcnt(0)
	; wave barrier
	s_waitcnt lgkmcnt(0)
	v_add_f32_e32 v44, v39, v41
	v_sub_f32_e32 v39, v39, v41
	v_add_f32_e32 v41, v8, v14
	v_add_f32_e32 v49, v40, v42
	v_sub_f32_e32 v40, v40, v42
	v_add_f32_e32 v42, v9, v15
	v_sub_f32_e32 v8, v8, v14
	;; [unrolled: 2-line block ×6, first 2 shown]
	v_sub_f32_e32 v44, v44, v14
	v_sub_f32_e32 v41, v14, v41
	v_add_f32_e32 v14, v14, v12
	v_sub_f32_e32 v51, v42, v49
	v_sub_f32_e32 v49, v49, v15
	;; [unrolled: 1-line block ×3, first 2 shown]
	v_add_f32_e32 v15, v15, v13
	v_add_f32_e32 v12, v18, v14
	;; [unrolled: 1-line block ×4, first 2 shown]
	v_sub_f32_e32 v54, v10, v8
	v_sub_f32_e32 v55, v11, v9
	v_add_f32_e32 v13, v19, v15
	v_mov_b32_e32 v56, v12
	v_sub_f32_e32 v10, v39, v10
	v_sub_f32_e32 v11, v40, v11
	;; [unrolled: 1-line block ×4, first 2 shown]
	v_add_f32_e32 v39, v52, v39
	v_add_f32_e32 v40, v53, v40
	v_mul_f32_e32 v18, 0x3f4a47b2, v44
	v_mul_f32_e32 v19, 0x3f4a47b2, v49
	;; [unrolled: 1-line block ×6, first 2 shown]
	v_fmac_f32_e32 v56, 0xbf955555, v14
	v_mov_b32_e32 v14, v13
	v_mul_f32_e32 v54, 0xbf5ff5aa, v8
	v_mul_f32_e32 v55, 0xbf5ff5aa, v9
	v_fmac_f32_e32 v14, 0xbf955555, v15
	v_fma_f32 v15, v50, s1, -v44
	v_fma_f32 v44, v51, s1, -v49
	s_mov_b32 s1, 0xbf3bfb3b
	v_fma_f32 v8, v8, s0, -v52
	v_fma_f32 v9, v9, s0, -v53
	s_mov_b32 s0, 0x3eae86e6
	v_fma_f32 v49, v50, s1, -v18
	v_fmac_f32_e32 v18, 0x3d64c772, v41
	v_fma_f32 v41, v51, s1, -v19
	v_fmac_f32_e32 v19, 0x3d64c772, v42
	v_fmac_f32_e32 v52, 0xbeae86e6, v10
	v_fmac_f32_e32 v53, 0xbeae86e6, v11
	v_fma_f32 v10, v10, s0, -v54
	v_fma_f32 v11, v11, s0, -v55
	v_add_f32_e32 v50, v18, v56
	v_add_f32_e32 v51, v19, v14
	;; [unrolled: 1-line block ×6, first 2 shown]
	v_fmac_f32_e32 v52, 0xbee1c552, v39
	v_fmac_f32_e32 v53, 0xbee1c552, v40
	;; [unrolled: 1-line block ×6, first 2 shown]
	v_add_f32_e32 v14, v50, v53
	v_sub_f32_e32 v15, v51, v52
	v_add_f32_e32 v39, v11, v44
	v_sub_f32_e32 v40, v49, v10
	v_sub_f32_e32 v41, v18, v9
	v_add_f32_e32 v42, v8, v19
	v_add_f32_e32 v18, v9, v18
	v_sub_f32_e32 v19, v19, v8
	v_sub_f32_e32 v8, v44, v11
	v_add_f32_e32 v9, v10, v49
	v_sub_f32_e32 v10, v50, v53
	v_add_f32_e32 v11, v52, v51
	ds_write2_b64 v48, v[12:13], v[14:15] offset1:1
	ds_write2_b64 v48, v[39:40], v[41:42] offset0:2 offset1:3
	ds_write2_b64 v48, v[18:19], v[8:9] offset0:4 offset1:5
	ds_write_b64 v48, v[10:11] offset:48
	s_waitcnt lgkmcnt(0)
	; wave barrier
	s_waitcnt lgkmcnt(0)
	ds_read_b64 v[39:40], v47
	ds_read2_b64 v[12:15], v46 offset0:7 offset1:14
	ds_read_b64 v[41:42], v46 offset:168
	s_and_saveexec_b64 s[0:1], vcc
	s_cbranch_execz .LBB0_7
; %bb.6:
	ds_read2_b64 v[8:11], v46 offset0:11 offset1:18
	ds_read_b64 v[18:19], v43 offset:32
	ds_read_b64 v[16:17], v46 offset:200
.LBB0_7:
	s_or_b64 exec, exec, s[0:1]
	s_waitcnt lgkmcnt(1)
	v_mul_f32_e32 v44, v5, v13
	v_mul_f32_e32 v5, v5, v12
	v_fmac_f32_e32 v44, v4, v12
	v_fma_f32 v4, v4, v13, -v5
	v_mul_f32_e32 v5, v7, v15
	v_mul_f32_e32 v7, v7, v14
	v_fmac_f32_e32 v5, v6, v14
	v_fma_f32 v6, v6, v15, -v7
	s_waitcnt lgkmcnt(0)
	v_mul_f32_e32 v7, v38, v42
	v_mul_f32_e32 v12, v38, v41
	v_fmac_f32_e32 v7, v37, v41
	v_fma_f32 v12, v37, v42, -v12
	v_sub_f32_e32 v14, v39, v5
	v_sub_f32_e32 v15, v40, v6
	;; [unrolled: 1-line block ×4, first 2 shown]
	v_fma_f32 v6, v39, 2.0, -v14
	v_fma_f32 v13, v40, 2.0, -v15
	;; [unrolled: 1-line block ×4, first 2 shown]
	v_sub_f32_e32 v4, v6, v5
	v_sub_f32_e32 v5, v13, v7
	v_fma_f32 v6, v6, 2.0, -v4
	v_fma_f32 v7, v13, 2.0, -v5
	v_add_f32_e32 v12, v14, v12
	v_sub_f32_e32 v13, v15, v37
	v_fma_f32 v14, v14, 2.0, -v12
	v_fma_f32 v15, v15, 2.0, -v13
	ds_write_b64 v47, v[6:7]
	ds_write2_b64 v46, v[14:15], v[4:5] offset0:7 offset1:14
	ds_write_b64 v46, v[12:13] offset:168
	s_and_saveexec_b64 s[0:1], vcc
	s_cbranch_execz .LBB0_9
; %bb.8:
	v_mul_f32_e32 v4, v3, v10
	v_fma_f32 v4, v2, v11, -v4
	v_sub_f32_e32 v7, v19, v4
	v_mul_f32_e32 v12, v1, v9
	v_mul_f32_e32 v4, v36, v17
	;; [unrolled: 1-line block ×3, first 2 shown]
	v_fmac_f32_e32 v12, v0, v8
	v_fmac_f32_e32 v4, v35, v16
	v_mul_f32_e32 v3, v3, v11
	v_fma_f32 v0, v0, v9, -v1
	v_mul_f32_e32 v1, v36, v16
	v_sub_f32_e32 v13, v12, v4
	v_fmac_f32_e32 v3, v2, v10
	v_fma_f32 v1, v35, v17, -v1
	v_sub_f32_e32 v4, v7, v13
	v_sub_f32_e32 v2, v18, v3
	;; [unrolled: 1-line block ×3, first 2 shown]
	v_fma_f32 v6, v7, 2.0, -v4
	v_add_f32_e32 v3, v2, v1
	v_fma_f32 v7, v19, 2.0, -v7
	v_fma_f32 v0, v0, 2.0, -v1
	;; [unrolled: 1-line block ×3, first 2 shown]
	v_sub_f32_e32 v1, v7, v0
	v_fma_f32 v2, v18, 2.0, -v2
	v_fma_f32 v0, v12, 2.0, -v13
	v_sub_f32_e32 v0, v2, v0
	v_fma_f32 v8, v7, 2.0, -v1
	v_fma_f32 v7, v2, 2.0, -v0
	ds_write_b64 v43, v[7:8] offset:32
	ds_write2_b64 v46, v[5:6], v[0:1] offset0:11 offset1:18
	ds_write_b64 v46, v[3:4] offset:200
.LBB0_9:
	s_or_b64 exec, exec, s[0:1]
	s_waitcnt lgkmcnt(0)
	; wave barrier
	s_waitcnt lgkmcnt(0)
	ds_read_b64 v[2:3], v47
	ds_read_b64 v[4:5], v43 offset:32
	ds_read_b64 v[6:7], v46 offset:192
	v_mad_u64_u32 v[0:1], s[0:1], s10, v20, 0
	s_waitcnt lgkmcnt(2)
	v_mul_f32_e32 v8, v34, v3
	v_fmac_f32_e32 v8, v33, v2
	v_mul_f32_e32 v2, v34, v2
	v_fma_f32 v2, v33, v3, -v2
	v_cvt_f64_f32_e32 v[2:3], v2
	s_mov_b32 s0, 0x92492492
	v_cvt_f64_f32_e32 v[8:9], v8
	s_mov_b32 s1, 0x3fa24924
	v_mul_f64 v[2:3], v[2:3], s[0:1]
	v_mad_u64_u32 v[10:11], s[4:5], s8, v45, 0
	v_mul_f64 v[8:9], v[8:9], s[0:1]
	v_mad_u64_u32 v[12:13], s[4:5], s11, v20, v[1:2]
	v_mov_b32_e32 v1, v11
	v_mad_u64_u32 v[13:14], s[4:5], s9, v45, v[1:2]
	v_cvt_f32_f64_e32 v8, v[8:9]
	v_cvt_f32_f64_e32 v9, v[2:3]
	s_waitcnt lgkmcnt(1)
	v_mul_f32_e32 v2, v22, v5
	v_mov_b32_e32 v1, v12
	v_fmac_f32_e32 v2, v21, v4
	v_lshlrev_b64 v[0:1], 3, v[0:1]
	v_cvt_f64_f32_e32 v[2:3], v2
	v_add_co_u32_e32 v14, vcc, s2, v0
	v_mul_f32_e32 v0, v22, v4
	v_mov_b32_e32 v12, s3
	v_fma_f32 v0, v21, v5, -v0
	v_mov_b32_e32 v11, v13
	v_addc_co_u32_e32 v15, vcc, v12, v1, vcc
	v_mul_f64 v[12:13], v[2:3], s[0:1]
	v_cvt_f64_f32_e32 v[4:5], v0
	ds_read2_b64 v[0:3], v46 offset0:8 offset1:12
	v_lshlrev_b64 v[10:11], 3, v[10:11]
	s_lshl_b64 s[2:3], s[8:9], 5
	v_add_co_u32_e32 v10, vcc, v14, v10
	v_addc_co_u32_e32 v11, vcc, v15, v11, vcc
	v_mul_f64 v[4:5], v[4:5], s[0:1]
	global_store_dwordx2 v[10:11], v[8:9], off
	s_waitcnt lgkmcnt(0)
	v_mul_f32_e32 v9, v32, v1
	v_fmac_f32_e32 v9, v31, v0
	v_mul_f32_e32 v0, v32, v0
	v_fma_f32 v0, v31, v1, -v0
	v_cvt_f32_f64_e32 v8, v[12:13]
	v_cvt_f64_f32_e32 v[12:13], v9
	v_cvt_f64_f32_e32 v[0:1], v0
	v_cvt_f32_f64_e32 v9, v[4:5]
	v_mov_b32_e32 v16, s3
	v_mul_f64 v[4:5], v[12:13], s[0:1]
	v_mul_f64 v[0:1], v[0:1], s[0:1]
	v_add_co_u32_e32 v10, vcc, s2, v10
	v_addc_co_u32_e32 v11, vcc, v11, v16, vcc
	global_store_dwordx2 v[10:11], v[8:9], off
	v_add_co_u32_e32 v10, vcc, s2, v10
	v_cvt_f32_f64_e32 v4, v[4:5]
	v_cvt_f32_f64_e32 v5, v[0:1]
	v_mul_f32_e32 v0, v24, v3
	v_fmac_f32_e32 v0, v23, v2
	v_cvt_f64_f32_e32 v[8:9], v0
	v_mul_f32_e32 v0, v24, v2
	v_fma_f32 v0, v23, v3, -v0
	v_cvt_f64_f32_e32 v[12:13], v0
	ds_read2_b64 v[0:3], v46 offset0:16 offset1:20
	v_mul_f64 v[8:9], v[8:9], s[0:1]
	v_addc_co_u32_e32 v11, vcc, v11, v16, vcc
	v_mul_f64 v[12:13], v[12:13], s[0:1]
	s_waitcnt lgkmcnt(0)
	v_mul_f32_e32 v14, v30, v1
	v_fmac_f32_e32 v14, v29, v0
	v_mul_f32_e32 v0, v30, v0
	v_fma_f32 v0, v29, v1, -v0
	v_cvt_f64_f32_e32 v[0:1], v0
	v_cvt_f64_f32_e32 v[14:15], v14
	global_store_dwordx2 v[10:11], v[4:5], off
	v_cvt_f32_f64_e32 v4, v[8:9]
	v_mul_f64 v[0:1], v[0:1], s[0:1]
	v_mul_f64 v[8:9], v[14:15], s[0:1]
	v_cvt_f32_f64_e32 v5, v[12:13]
	v_add_co_u32_e32 v10, vcc, s2, v10
	v_addc_co_u32_e32 v11, vcc, v11, v16, vcc
	global_store_dwordx2 v[10:11], v[4:5], off
	v_cvt_f32_f64_e32 v5, v[0:1]
	v_mul_f32_e32 v0, v26, v3
	v_fmac_f32_e32 v0, v25, v2
	v_mul_f32_e32 v2, v26, v2
	v_fma_f32 v2, v25, v3, -v2
	v_cvt_f64_f32_e32 v[0:1], v0
	v_cvt_f64_f32_e32 v[2:3], v2
	v_cvt_f32_f64_e32 v4, v[8:9]
	v_add_co_u32_e32 v8, vcc, s2, v10
	v_mul_f32_e32 v10, v28, v7
	v_fmac_f32_e32 v10, v27, v6
	v_mul_f32_e32 v6, v28, v6
	v_fma_f32 v6, v27, v7, -v6
	v_addc_co_u32_e32 v9, vcc, v11, v16, vcc
	v_mul_f64 v[0:1], v[0:1], s[0:1]
	v_mul_f64 v[2:3], v[2:3], s[0:1]
	v_cvt_f64_f32_e32 v[10:11], v10
	v_cvt_f64_f32_e32 v[6:7], v6
	global_store_dwordx2 v[8:9], v[4:5], off
	v_mul_f64 v[4:5], v[10:11], s[0:1]
	v_mul_f64 v[6:7], v[6:7], s[0:1]
	v_cvt_f32_f64_e32 v0, v[0:1]
	v_cvt_f32_f64_e32 v1, v[2:3]
	v_add_co_u32_e32 v2, vcc, s2, v8
	v_addc_co_u32_e32 v3, vcc, v9, v16, vcc
	global_store_dwordx2 v[2:3], v[0:1], off
	v_cvt_f32_f64_e32 v0, v[4:5]
	v_cvt_f32_f64_e32 v1, v[6:7]
	v_add_co_u32_e32 v2, vcc, s2, v2
	v_addc_co_u32_e32 v3, vcc, v3, v16, vcc
	global_store_dwordx2 v[2:3], v[0:1], off
.LBB0_10:
	s_endpgm
	.section	.rodata,"a",@progbits
	.p2align	6, 0x0
	.amdhsa_kernel bluestein_single_fwd_len28_dim1_sp_op_CI_CI
		.amdhsa_group_segment_fixed_size 3584
		.amdhsa_private_segment_fixed_size 0
		.amdhsa_kernarg_size 104
		.amdhsa_user_sgpr_count 6
		.amdhsa_user_sgpr_private_segment_buffer 1
		.amdhsa_user_sgpr_dispatch_ptr 0
		.amdhsa_user_sgpr_queue_ptr 0
		.amdhsa_user_sgpr_kernarg_segment_ptr 1
		.amdhsa_user_sgpr_dispatch_id 0
		.amdhsa_user_sgpr_flat_scratch_init 0
		.amdhsa_user_sgpr_private_segment_size 0
		.amdhsa_uses_dynamic_stack 0
		.amdhsa_system_sgpr_private_segment_wavefront_offset 0
		.amdhsa_system_sgpr_workgroup_id_x 1
		.amdhsa_system_sgpr_workgroup_id_y 0
		.amdhsa_system_sgpr_workgroup_id_z 0
		.amdhsa_system_sgpr_workgroup_info 0
		.amdhsa_system_vgpr_workitem_id 0
		.amdhsa_next_free_vgpr 59
		.amdhsa_next_free_sgpr 20
		.amdhsa_reserve_vcc 1
		.amdhsa_reserve_flat_scratch 0
		.amdhsa_float_round_mode_32 0
		.amdhsa_float_round_mode_16_64 0
		.amdhsa_float_denorm_mode_32 3
		.amdhsa_float_denorm_mode_16_64 3
		.amdhsa_dx10_clamp 1
		.amdhsa_ieee_mode 1
		.amdhsa_fp16_overflow 0
		.amdhsa_exception_fp_ieee_invalid_op 0
		.amdhsa_exception_fp_denorm_src 0
		.amdhsa_exception_fp_ieee_div_zero 0
		.amdhsa_exception_fp_ieee_overflow 0
		.amdhsa_exception_fp_ieee_underflow 0
		.amdhsa_exception_fp_ieee_inexact 0
		.amdhsa_exception_int_div_zero 0
	.end_amdhsa_kernel
	.text
.Lfunc_end0:
	.size	bluestein_single_fwd_len28_dim1_sp_op_CI_CI, .Lfunc_end0-bluestein_single_fwd_len28_dim1_sp_op_CI_CI
                                        ; -- End function
	.section	.AMDGPU.csdata,"",@progbits
; Kernel info:
; codeLenInByte = 3672
; NumSgprs: 24
; NumVgprs: 59
; ScratchSize: 0
; MemoryBound: 0
; FloatMode: 240
; IeeeMode: 1
; LDSByteSize: 3584 bytes/workgroup (compile time only)
; SGPRBlocks: 2
; VGPRBlocks: 14
; NumSGPRsForWavesPerEU: 24
; NumVGPRsForWavesPerEU: 59
; Occupancy: 4
; WaveLimiterHint : 1
; COMPUTE_PGM_RSRC2:SCRATCH_EN: 0
; COMPUTE_PGM_RSRC2:USER_SGPR: 6
; COMPUTE_PGM_RSRC2:TRAP_HANDLER: 0
; COMPUTE_PGM_RSRC2:TGID_X_EN: 1
; COMPUTE_PGM_RSRC2:TGID_Y_EN: 0
; COMPUTE_PGM_RSRC2:TGID_Z_EN: 0
; COMPUTE_PGM_RSRC2:TIDIG_COMP_CNT: 0
	.type	__hip_cuid_4af5be35de276756,@object ; @__hip_cuid_4af5be35de276756
	.section	.bss,"aw",@nobits
	.globl	__hip_cuid_4af5be35de276756
__hip_cuid_4af5be35de276756:
	.byte	0                               ; 0x0
	.size	__hip_cuid_4af5be35de276756, 1

	.ident	"AMD clang version 19.0.0git (https://github.com/RadeonOpenCompute/llvm-project roc-6.4.0 25133 c7fe45cf4b819c5991fe208aaa96edf142730f1d)"
	.section	".note.GNU-stack","",@progbits
	.addrsig
	.addrsig_sym __hip_cuid_4af5be35de276756
	.amdgpu_metadata
---
amdhsa.kernels:
  - .args:
      - .actual_access:  read_only
        .address_space:  global
        .offset:         0
        .size:           8
        .value_kind:     global_buffer
      - .actual_access:  read_only
        .address_space:  global
        .offset:         8
        .size:           8
        .value_kind:     global_buffer
      - .actual_access:  read_only
        .address_space:  global
        .offset:         16
        .size:           8
        .value_kind:     global_buffer
      - .actual_access:  read_only
        .address_space:  global
        .offset:         24
        .size:           8
        .value_kind:     global_buffer
      - .actual_access:  read_only
        .address_space:  global
        .offset:         32
        .size:           8
        .value_kind:     global_buffer
      - .offset:         40
        .size:           8
        .value_kind:     by_value
      - .address_space:  global
        .offset:         48
        .size:           8
        .value_kind:     global_buffer
      - .address_space:  global
        .offset:         56
        .size:           8
        .value_kind:     global_buffer
      - .address_space:  global
        .offset:         64
        .size:           8
        .value_kind:     global_buffer
      - .address_space:  global
        .offset:         72
        .size:           8
        .value_kind:     global_buffer
      - .offset:         80
        .size:           4
        .value_kind:     by_value
      - .address_space:  global
        .offset:         88
        .size:           8
        .value_kind:     global_buffer
      - .address_space:  global
        .offset:         96
        .size:           8
        .value_kind:     global_buffer
    .group_segment_fixed_size: 3584
    .kernarg_segment_align: 8
    .kernarg_segment_size: 104
    .language:       OpenCL C
    .language_version:
      - 2
      - 0
    .max_flat_workgroup_size: 64
    .name:           bluestein_single_fwd_len28_dim1_sp_op_CI_CI
    .private_segment_fixed_size: 0
    .sgpr_count:     24
    .sgpr_spill_count: 0
    .symbol:         bluestein_single_fwd_len28_dim1_sp_op_CI_CI.kd
    .uniform_work_group_size: 1
    .uses_dynamic_stack: false
    .vgpr_count:     59
    .vgpr_spill_count: 0
    .wavefront_size: 64
amdhsa.target:   amdgcn-amd-amdhsa--gfx906
amdhsa.version:
  - 1
  - 2
...

	.end_amdgpu_metadata
